;; amdgpu-corpus repo=zjin-lcf/HeCBench kind=compiled arch=gfx1030 opt=O3
	.amdgcn_target "amdgcn-amd-amdhsa--gfx1030"
	.amdhsa_code_object_version 6
	.text
	.protected	_Z17linear_regressionPK15HIP_vector_typeIfLj2EEPS_IfLj4EE ; -- Begin function _Z17linear_regressionPK15HIP_vector_typeIfLj2EEPS_IfLj4EE
	.globl	_Z17linear_regressionPK15HIP_vector_typeIfLj2EEPS_IfLj4EE
	.p2align	8
	.type	_Z17linear_regressionPK15HIP_vector_typeIfLj2EEPS_IfLj4EE,@function
_Z17linear_regressionPK15HIP_vector_typeIfLj2EEPS_IfLj4EE: ; @_Z17linear_regressionPK15HIP_vector_typeIfLj2EEPS_IfLj4EE
; %bb.0:
	s_clause 0x1
	s_load_dword s0, s[4:5], 0x1c
	s_load_dwordx2 s[2:3], s[4:5], 0x0
	v_lshlrev_b32_e32 v1, 3, v0
	v_lshl_add_u32 v6, v0, 4, 0
	s_mov_b32 s1, 0
	s_waitcnt lgkmcnt(0)
	s_and_b32 s0, s0, 0xffff
	s_mul_hi_u32 s9, s0, s6
	s_mul_i32 s8, s0, s6
	s_lshl_b64 s[8:9], s[8:9], 3
	s_add_u32 s2, s2, s8
	s_addc_u32 s3, s3, s9
	s_cmp_lt_u32 s0, 2
	global_load_dwordx2 v[2:3], v1, s[2:3]
	v_mov_b32_e32 v1, 0
	s_waitcnt vmcnt(0)
	v_mul_f32_e32 v4, v2, v3
	v_mul_f32_e32 v5, v2, v2
	ds_write_b128 v6, v[2:5]
	s_waitcnt lgkmcnt(0)
	s_barrier
	buffer_gl0_inv
	s_cbranch_scc1 .LBB0_6
; %bb.1:
	s_mov_b64 s[2:3], s[0:1]
	s_inst_prefetch 0x1
	s_branch .LBB0_3
	.p2align	6
.LBB0_2:                                ;   in Loop: Header=BB0_3 Depth=1
	s_or_b32 exec_lo, exec_lo, s0
	v_cmp_lt_u64_e64 s0, s[8:9], 4
	s_waitcnt lgkmcnt(0)
	s_barrier
	buffer_gl0_inv
	s_and_b32 vcc_lo, exec_lo, s0
	s_cbranch_vccnz .LBB0_6
.LBB0_3:                                ; =>This Inner Loop Header: Depth=1
	s_mov_b64 s[8:9], s[2:3]
	s_lshr_b64 s[2:3], s[2:3], 1
	s_mov_b32 s0, exec_lo
	v_cmpx_gt_u64_e64 s[2:3], v[0:1]
	s_cbranch_execz .LBB0_2
; %bb.4:                                ;   in Loop: Header=BB0_3 Depth=1
	s_lshl_b32 s7, s8, 3
	s_and_b32 s7, s7, -16
	s_add_u32 s10, s2, -1
	v_add_nc_u32_e32 v2, s7, v6
	s_addc_u32 s11, s3, -1
	s_bitcmp1_b32 s8, 0
	v_cmp_eq_u64_e32 vcc_lo, s[10:11], v[0:1]
	s_cselect_b32 s7, -1, 0
	ds_read_b128 v[2:5], v2
	ds_read_b128 v[7:10], v6
	s_and_b32 s7, s7, vcc_lo
	s_waitcnt lgkmcnt(0)
	v_add_f32_e32 v5, v5, v10
	v_add_f32_e32 v4, v4, v9
	;; [unrolled: 1-line block ×4, first 2 shown]
	ds_write_b128 v6, v[2:5]
	s_and_b32 exec_lo, exec_lo, s7
	s_cbranch_execz .LBB0_2
; %bb.5:                                ;   in Loop: Header=BB0_3 Depth=1
	s_lshl_b32 s7, s8, 4
	s_add_i32 s7, s7, 0
	s_add_i32 s7, s7, -16
	v_mov_b32_e32 v7, s7
	ds_read_b128 v[7:10], v7
	s_waitcnt lgkmcnt(0)
	v_add_f32_e32 v5, v5, v10
	v_add_f32_e32 v4, v4, v9
	;; [unrolled: 1-line block ×4, first 2 shown]
	ds_write_b128 v6, v[2:5]
	s_branch .LBB0_2
.LBB0_6:
	s_inst_prefetch 0x2
	s_mov_b32 s0, exec_lo
	v_cmpx_eq_u32_e32 0, v0
	s_cbranch_execz .LBB0_8
; %bb.7:
	v_mov_b32_e32 v4, 0
	s_load_dwordx2 s[2:3], s[4:5], 0x8
	s_mov_b32 s7, s1
	s_lshl_b64 s[0:1], s[6:7], 4
	ds_read_b128 v[0:3], v4
	s_waitcnt lgkmcnt(0)
	s_add_u32 s0, s2, s0
	s_addc_u32 s1, s3, s1
	global_store_dwordx4 v4, v[0:3], s[0:1]
.LBB0_8:
	s_endpgm
	.section	.rodata,"a",@progbits
	.p2align	6, 0x0
	.amdhsa_kernel _Z17linear_regressionPK15HIP_vector_typeIfLj2EEPS_IfLj4EE
		.amdhsa_group_segment_fixed_size 0
		.amdhsa_private_segment_fixed_size 0
		.amdhsa_kernarg_size 272
		.amdhsa_user_sgpr_count 6
		.amdhsa_user_sgpr_private_segment_buffer 1
		.amdhsa_user_sgpr_dispatch_ptr 0
		.amdhsa_user_sgpr_queue_ptr 0
		.amdhsa_user_sgpr_kernarg_segment_ptr 1
		.amdhsa_user_sgpr_dispatch_id 0
		.amdhsa_user_sgpr_flat_scratch_init 0
		.amdhsa_user_sgpr_private_segment_size 0
		.amdhsa_wavefront_size32 1
		.amdhsa_uses_dynamic_stack 0
		.amdhsa_system_sgpr_private_segment_wavefront_offset 0
		.amdhsa_system_sgpr_workgroup_id_x 1
		.amdhsa_system_sgpr_workgroup_id_y 0
		.amdhsa_system_sgpr_workgroup_id_z 0
		.amdhsa_system_sgpr_workgroup_info 0
		.amdhsa_system_vgpr_workitem_id 0
		.amdhsa_next_free_vgpr 11
		.amdhsa_next_free_sgpr 12
		.amdhsa_reserve_vcc 1
		.amdhsa_reserve_flat_scratch 0
		.amdhsa_float_round_mode_32 0
		.amdhsa_float_round_mode_16_64 0
		.amdhsa_float_denorm_mode_32 3
		.amdhsa_float_denorm_mode_16_64 3
		.amdhsa_dx10_clamp 1
		.amdhsa_ieee_mode 1
		.amdhsa_fp16_overflow 0
		.amdhsa_workgroup_processor_mode 1
		.amdhsa_memory_ordered 1
		.amdhsa_forward_progress 1
		.amdhsa_shared_vgpr_count 0
		.amdhsa_exception_fp_ieee_invalid_op 0
		.amdhsa_exception_fp_denorm_src 0
		.amdhsa_exception_fp_ieee_div_zero 0
		.amdhsa_exception_fp_ieee_overflow 0
		.amdhsa_exception_fp_ieee_underflow 0
		.amdhsa_exception_fp_ieee_inexact 0
		.amdhsa_exception_int_div_zero 0
	.end_amdhsa_kernel
	.text
.Lfunc_end0:
	.size	_Z17linear_regressionPK15HIP_vector_typeIfLj2EEPS_IfLj4EE, .Lfunc_end0-_Z17linear_regressionPK15HIP_vector_typeIfLj2EEPS_IfLj4EE
                                        ; -- End function
	.set _Z17linear_regressionPK15HIP_vector_typeIfLj2EEPS_IfLj4EE.num_vgpr, 11
	.set _Z17linear_regressionPK15HIP_vector_typeIfLj2EEPS_IfLj4EE.num_agpr, 0
	.set _Z17linear_regressionPK15HIP_vector_typeIfLj2EEPS_IfLj4EE.numbered_sgpr, 12
	.set _Z17linear_regressionPK15HIP_vector_typeIfLj2EEPS_IfLj4EE.num_named_barrier, 0
	.set _Z17linear_regressionPK15HIP_vector_typeIfLj2EEPS_IfLj4EE.private_seg_size, 0
	.set _Z17linear_regressionPK15HIP_vector_typeIfLj2EEPS_IfLj4EE.uses_vcc, 1
	.set _Z17linear_regressionPK15HIP_vector_typeIfLj2EEPS_IfLj4EE.uses_flat_scratch, 0
	.set _Z17linear_regressionPK15HIP_vector_typeIfLj2EEPS_IfLj4EE.has_dyn_sized_stack, 0
	.set _Z17linear_regressionPK15HIP_vector_typeIfLj2EEPS_IfLj4EE.has_recursion, 0
	.set _Z17linear_regressionPK15HIP_vector_typeIfLj2EEPS_IfLj4EE.has_indirect_call, 0
	.section	.AMDGPU.csdata,"",@progbits
; Kernel info:
; codeLenInByte = 464
; TotalNumSgprs: 14
; NumVgprs: 11
; ScratchSize: 0
; MemoryBound: 0
; FloatMode: 240
; IeeeMode: 1
; LDSByteSize: 0 bytes/workgroup (compile time only)
; SGPRBlocks: 0
; VGPRBlocks: 1
; NumSGPRsForWavesPerEU: 14
; NumVGPRsForWavesPerEU: 11
; Occupancy: 16
; WaveLimiterHint : 0
; COMPUTE_PGM_RSRC2:SCRATCH_EN: 0
; COMPUTE_PGM_RSRC2:USER_SGPR: 6
; COMPUTE_PGM_RSRC2:TRAP_HANDLER: 0
; COMPUTE_PGM_RSRC2:TGID_X_EN: 1
; COMPUTE_PGM_RSRC2:TGID_Y_EN: 0
; COMPUTE_PGM_RSRC2:TGID_Z_EN: 0
; COMPUTE_PGM_RSRC2:TIDIG_COMP_CNT: 0
	.text
	.protected	_Z8rsquaredPK15HIP_vector_typeIfLj2EEfS0_PS0_ ; -- Begin function _Z8rsquaredPK15HIP_vector_typeIfLj2EEfS0_PS0_
	.globl	_Z8rsquaredPK15HIP_vector_typeIfLj2EEfS0_PS0_
	.p2align	8
	.type	_Z8rsquaredPK15HIP_vector_typeIfLj2EEfS0_PS0_,@function
_Z8rsquaredPK15HIP_vector_typeIfLj2EEfS0_PS0_: ; @_Z8rsquaredPK15HIP_vector_typeIfLj2EEfS0_PS0_
; %bb.0:
	s_clause 0x1
	s_load_dword s2, s[4:5], 0x2c
	s_load_dwordx2 s[0:1], s[4:5], 0x0
	v_lshlrev_b32_e32 v1, 3, v0
	s_clause 0x1
	s_load_dword s7, s[4:5], 0x8
	s_load_dwordx2 s[10:11], s[4:5], 0x10
	s_waitcnt lgkmcnt(0)
	s_and_b32 s8, s2, 0xffff
	s_mul_hi_u32 s3, s8, s6
	s_mul_i32 s2, s8, s6
	s_lshl_b64 s[2:3], s[2:3], 3
	s_add_u32 s0, s0, s2
	s_addc_u32 s1, s1, s3
	global_load_dwordx2 v[3:4], v1, s[0:1]
	s_mov_b32 s1, 0x3e76c4e1
	s_waitcnt vmcnt(0)
	v_subrev_f32_e32 v2, s7, v4
	v_fma_f32 v3, s11, v3, s10
	v_frexp_mant_f32_e64 v4, |v2|
	v_subrev_f32_e32 v3, s7, v3
	v_cmp_class_f32_e64 s9, v2, 0x204
	v_cmp_gt_f32_e32 vcc_lo, 0x3f2aaaab, v4
	v_frexp_mant_f32_e64 v6, |v3|
	v_cndmask_b32_e64 v5, 1.0, 2.0, vcc_lo
	v_cmp_gt_f32_e64 s0, 0x3f2aaaab, v6
	v_mul_f32_e32 v4, v4, v5
	v_cndmask_b32_e64 v5, 1.0, 2.0, s0
	v_add_f32_e32 v7, 1.0, v4
	v_mul_f32_e32 v5, v6, v5
	v_add_f32_e32 v9, -1.0, v4
	v_rcp_f32_e32 v6, v7
	v_add_f32_e32 v8, 1.0, v5
	v_add_f32_e32 v12, -1.0, v5
	v_add_f32_e32 v13, -1.0, v7
	v_rcp_f32_e32 v10, v8
	v_sub_f32_e32 v4, v4, v13
	v_add_f32_e32 v13, -1.0, v8
	v_mul_f32_e32 v11, v9, v6
	v_mul_f32_e32 v14, v7, v11
	;; [unrolled: 1-line block ×3, first 2 shown]
	v_fma_f32 v7, v11, v7, -v14
	v_mul_f32_e32 v16, v8, v15
	v_fmac_f32_e32 v7, v11, v4
	v_sub_f32_e32 v4, v5, v13
	v_fma_f32 v5, v15, v8, -v16
	v_add_f32_e32 v8, v14, v7
	v_fmac_f32_e32 v5, v15, v4
	v_sub_f32_e32 v4, v9, v8
	v_sub_f32_e32 v14, v8, v14
	v_add_f32_e32 v13, v16, v5
	v_sub_f32_e32 v9, v9, v4
	v_sub_f32_e32 v7, v14, v7
	;; [unrolled: 1-line block ×6, first 2 shown]
	v_add_f32_e32 v7, v7, v8
	v_sub_f32_e32 v5, v9, v5
	v_sub_f32_e32 v8, v12, v13
	v_add_f32_e32 v4, v4, v7
	v_add_f32_e32 v5, v5, v8
	v_mul_f32_e32 v4, v6, v4
	v_add_f32_e32 v5, v17, v5
	v_add_f32_e32 v8, v11, v4
	v_mul_f32_e32 v5, v10, v5
	v_sub_f32_e32 v6, v8, v11
	v_mul_f32_e32 v10, v8, v8
	v_add_f32_e32 v9, v15, v5
	v_sub_f32_e32 v11, v4, v6
	v_fma_f32 v12, v8, v8, -v10
	v_sub_f32_e32 v4, v9, v15
	v_mul_f32_e32 v13, v9, v9
	v_add_f32_e32 v6, v11, v11
	v_sub_f32_e32 v14, v5, v4
	v_fma_f32 v15, v9, v9, -v13
	v_fmac_f32_e32 v12, v8, v6
	v_add_f32_e32 v4, v14, v14
	v_add_f32_e32 v16, v10, v12
	v_fmac_f32_e32 v15, v9, v4
	v_cvt_f64_f32_e64 v[4:5], |v2|
	v_fmaak_f32 v6, s1, v16, 0x3e91f4c4
	v_sub_f32_e32 v10, v16, v10
	v_add_f32_e32 v17, v13, v15
	v_fmaak_f32 v18, v16, v6, 0x3ecccdef
	v_cvt_f64_f32_e64 v[6:7], |v3|
	v_fmaak_f32 v19, s1, v17, 0x3e91f4c4
	v_sub_f32_e32 v10, v12, v10
	v_sub_f32_e32 v13, v17, v13
	v_mul_f32_e32 v20, v16, v18
	v_mul_f32_e32 v23, v9, v17
	v_fmaak_f32 v19, v17, v19, 0x3ecccdef
	v_sub_f32_e32 v13, v15, v13
	v_fma_f32 v12, v16, v18, -v20
	v_mul_f32_e32 v21, v17, v19
	v_frexp_exp_i32_f64_e32 v4, v[4:5]
	v_fmac_f32_e32 v12, v10, v18
	v_fma_f32 v15, v17, v19, -v21
	v_mul_f32_e32 v5, v8, v16
	v_add_f32_e32 v18, v20, v12
	v_fmac_f32_e32 v15, v13, v19
	v_frexp_exp_i32_f64_e32 v6, v[6:7]
	v_fma_f32 v22, v16, v8, -v5
	v_sub_f32_e32 v7, v18, v20
	v_add_f32_e32 v19, 0x3f2aaaaa, v18
	v_add_f32_e32 v20, v21, v15
	v_fmac_f32_e32 v22, v16, v11
	v_ldexp_f32 v11, v11, 1
	v_sub_f32_e32 v7, v12, v7
	v_add_f32_e32 v12, 0xbf2aaaaa, v19
	v_sub_f32_e32 v21, v20, v21
	v_add_f32_e32 v24, 0x3f2aaaaa, v20
	v_fmac_f32_e32 v22, v10, v8
	v_add_f32_e32 v7, 0x31739010, v7
	v_sub_f32_e32 v12, v18, v12
	v_sub_f32_e32 v15, v15, v21
	v_add_f32_e32 v16, 0xbf2aaaaa, v24
	v_fma_f32 v18, v17, v9, -v23
	v_subrev_co_ci_u32_e64 v4, null, 0, v4, vcc_lo
	v_add_f32_e32 v7, v7, v12
	v_add_f32_e32 v10, 0x31739010, v15
	v_sub_f32_e32 v12, v20, v16
	v_fmac_f32_e32 v18, v17, v14
	v_cvt_f32_i32_e32 v4, v4
	v_add_f32_e32 v15, v19, v7
	v_subrev_co_ci_u32_e64 v6, null, 0, v6, s0
	v_add_f32_e32 v10, v10, v12
	v_fmac_f32_e32 v18, v13, v9
	v_add_f32_e32 v12, v5, v22
	v_sub_f32_e32 v13, v19, v15
	v_ldexp_f32 v9, v9, 1
	v_add_f32_e32 v16, v24, v10
	v_add_f32_e32 v17, v23, v18
	v_mul_f32_e32 v19, v12, v15
	v_sub_f32_e32 v5, v12, v5
	v_add_f32_e32 v7, v7, v13
	v_sub_f32_e32 v13, v24, v16
	v_mul_f32_e32 v20, v17, v16
	v_fma_f32 v21, v12, v15, -v19
	v_sub_f32_e32 v5, v22, v5
	v_sub_f32_e32 v22, v17, v23
	v_add_f32_e32 v10, v10, v13
	v_fma_f32 v13, v17, v16, -v20
	v_fmac_f32_e32 v21, v12, v7
	v_cvt_f32_i32_e32 v6, v6
	v_sub_f32_e32 v7, v18, v22
	v_ldexp_f32 v14, v14, 1
	v_fmac_f32_e32 v13, v17, v10
	v_fmac_f32_e32 v21, v5, v15
	v_mul_f32_e32 v5, 0x3f317218, v4
	v_mul_f32_e32 v15, 0x3f317218, v6
	v_cmp_eq_f32_e32 vcc_lo, 1.0, v2
	v_fmac_f32_e32 v13, v7, v16
	v_ldexp_f32 v7, v8, 1
	v_add_f32_e32 v8, v19, v21
	v_fma_f32 v10, 0x3f317218, v4, -v5
	v_add_f32_e32 v12, v20, v13
	v_add_f32_e32 v16, v7, v8
	v_sub_f32_e32 v17, v8, v19
	v_fmac_f32_e32 v10, 0xb102e308, v4
	v_add_f32_e32 v18, v9, v12
	v_sub_f32_e32 v19, v12, v20
	v_sub_f32_e32 v7, v16, v7
	v_sub_f32_e32 v17, v21, v17
	v_sub_f32_e32 v9, v18, v9
	v_sub_f32_e32 v13, v13, v19
	v_sub_f32_e32 v7, v8, v7
	v_add_f32_e32 v8, v11, v17
	v_fma_f32 v11, 0x3f317218, v6, -v15
	v_sub_f32_e32 v9, v12, v9
	v_add_f32_e32 v12, v14, v13
	v_add_f32_e32 v4, v8, v7
	v_fmac_f32_e32 v11, 0xb102e308, v6
	v_add_f32_e32 v7, v5, v10
	v_add_f32_e32 v6, v12, v9
	;; [unrolled: 1-line block ×4, first 2 shown]
	v_sub_f32_e32 v5, v7, v5
	v_add_f32_e32 v12, v18, v6
	v_add_f32_e32 v13, v7, v8
	v_sub_f32_e32 v15, v9, v15
	v_sub_f32_e32 v5, v10, v5
	v_add_f32_e32 v14, v9, v12
	v_sub_f32_e32 v10, v8, v16
	v_sub_f32_e32 v17, v13, v7
	;; [unrolled: 1-line block ×13, first 2 shown]
	v_add_f32_e32 v10, v5, v4
	v_add_f32_e32 v7, v8, v7
	;; [unrolled: 1-line block ×4, first 2 shown]
	v_sub_f32_e32 v12, v10, v5
	v_add_f32_e32 v7, v10, v7
	v_sub_f32_e32 v15, v8, v11
	v_add_f32_e32 v9, v8, v9
	;; [unrolled: 2-line block ×3, first 2 shown]
	v_sub_f32_e32 v4, v4, v12
	v_sub_f32_e32 v8, v8, v15
	v_add_f32_e32 v12, v14, v9
	v_sub_f32_e32 v5, v5, v10
	v_sub_f32_e32 v10, v16, v13
	;; [unrolled: 1-line block ×5, first 2 shown]
	v_add_f32_e32 v4, v4, v5
	v_sub_f32_e32 v5, v7, v10
	v_add_f32_e32 v6, v6, v8
	v_sub_f32_e32 v7, v9, v11
	v_add_f32_e32 v4, v4, v5
	v_add_f32_e32 v5, v6, v7
	v_cndmask_b32_e64 v7, 2.0, 1.0, vcc_lo
	v_add_f32_e32 v6, v16, v4
	v_cmp_eq_f32_e32 vcc_lo, 1.0, v3
	v_add_f32_e32 v8, v12, v5
	v_trunc_f32_e32 v18, v7
	v_sub_f32_e32 v10, v6, v16
	v_cndmask_b32_e64 v9, 2.0, 1.0, vcc_lo
	v_mul_f32_e32 v11, v7, v6
	v_sub_f32_e32 v12, v8, v12
	v_mul_f32_e32 v22, 0.5, v7
	v_sub_f32_e32 v4, v4, v10
	v_mul_f32_e32 v13, v9, v8
	v_fma_f32 v6, v7, v6, -v11
	v_sub_f32_e32 v5, v5, v12
	v_cmp_class_f32_e64 vcc_lo, v11, 0x204
	v_cmp_eq_f32_e64 s0, v18, v7
	v_fma_f32 v8, v9, v8, -v13
	v_fmac_f32_e32 v6, v7, v4
	v_trunc_f32_e32 v26, v9
	v_mul_f32_e32 v27, 0.5, v9
	v_trunc_f32_e32 v25, v22
	v_fmac_f32_e32 v8, v9, v5
	v_add_f32_e32 v4, v11, v6
	v_cmp_eq_f32_e64 s2, v26, v9
	v_cmp_neq_f32_e64 s1, v25, v22
	v_add_f32_e32 v5, v13, v8
	v_cndmask_b32_e32 v10, v4, v11, vcc_lo
	v_cmp_class_f32_e64 vcc_lo, v13, 0x204
	v_sub_f32_e32 v4, v4, v11
	s_and_b32 s1, s0, s1
	v_cmp_neq_f32_e64 s3, 0x7f800000, |v10|
	v_cndmask_b32_e32 v12, v5, v13, vcc_lo
	v_cmp_eq_f32_e32 vcc_lo, 0x42b17218, v10
	v_sub_f32_e32 v4, v6, v4
	v_sub_f32_e32 v5, v5, v13
	v_cndmask_b32_e64 v14, 0, 0x37000000, vcc_lo
	v_cmp_eq_f32_e32 vcc_lo, 0x42b17218, v12
	v_cndmask_b32_e64 v4, 0, v4, s3
	v_sub_f32_e32 v5, v8, v5
	v_cmp_neq_f32_e64 s3, 0x7f800000, |v12|
	v_sub_f32_e32 v16, v10, v14
	v_cndmask_b32_e64 v15, 0, 0x37000000, vcc_lo
	v_add_f32_e32 v4, v14, v4
	v_cndmask_b32_e64 v8, 1.0, v2, s1
	v_cndmask_b32_e64 v5, 0, v5, s3
	v_mul_f32_e32 v19, 0x3fb8aa3b, v16
	v_sub_f32_e32 v17, v12, v15
	v_cmp_ngt_f32_e64 s3, 0xc2ce8ed0, v16
	v_cmp_eq_f32_e32 vcc_lo, 0, v2
	v_add_f32_e32 v5, v15, v5
	v_fma_f32 v7, 0x3fb8aa3b, v16, -v19
	v_mul_f32_e32 v21, 0x3fb8aa3b, v17
	v_rndne_f32_e32 v18, v19
	v_cndmask_b32_e64 v20, 0x7f800000, 0, vcc_lo
	s_or_b32 vcc_lo, vcc_lo, s9
	v_fmac_f32_e32 v7, 0x32a5705f, v16
	v_fma_f32 v23, 0x3fb8aa3b, v17, -v21
	v_rndne_f32_e32 v24, v21
	v_sub_f32_e32 v19, v19, v18
	v_cvt_i32_f32_e32 v9, v18
	s_mov_b32 s9, 0
	v_fmac_f32_e32 v23, 0x32a5705f, v17
	v_sub_f32_e32 v21, v21, v24
	v_add_f32_e32 v7, v19, v7
	v_cvt_i32_f32_e32 v10, v24
	v_add_f32_e32 v11, v21, v23
	v_exp_f32_e32 v6, v7
	v_exp_f32_e32 v7, v11
	v_trunc_f32_e32 v11, v27
	v_ldexp_f32 v6, v6, v9
	v_ldexp_f32 v7, v7, v10
	v_cndmask_b32_e64 v6, 0, v6, s3
	v_cmp_ngt_f32_e64 s3, 0xc2ce8ed0, v17
	v_cndmask_b32_e64 v7, 0, v7, s3
	v_cmp_nlt_f32_e64 s3, 0x42b17218, v16
	v_cndmask_b32_e64 v6, 0x7f800000, v6, s3
	v_cmp_nlt_f32_e64 s3, 0x42b17218, v17
	v_fma_f32 v4, v6, v4, v6
	v_cndmask_b32_e64 v7, 0x7f800000, v7, s3
	v_cmp_class_f32_e64 s7, v6, 0x204
	v_cmp_neq_f32_e64 s3, v11, v27
	v_fma_f32 v5, v7, v5, v7
	v_cndmask_b32_e64 v4, v4, v6, s7
	v_cmp_class_f32_e64 s7, v7, 0x204
	s_and_b32 s3, s2, s3
	v_cndmask_b32_e64 v9, 1.0, v3, s3
	v_bfi_b32 v4, 0x7fffffff, v4, v8
	v_cndmask_b32_e64 v5, v5, v7, s7
	v_cmp_eq_f32_e64 s7, 0, v3
	v_cndmask_b32_e64 v7, 0, v2, s1
	v_cndmask_b32_e64 v8, 0, v3, s3
	v_cmp_class_f32_e64 s1, v3, 0x204
	v_bfi_b32 v5, 0x7fffffff, v5, v9
	v_cndmask_b32_e64 v9, 0x7fc00000, v4, s0
	v_cmp_gt_f32_e64 s0, 0, v2
	v_cndmask_b32_e64 v6, 0x7f800000, 0, s7
	v_bfi_b32 v7, 0x7fffffff, v20, v7
	v_cndmask_b32_e64 v10, 0x7fc00000, v5, s2
	v_cndmask_b32_e64 v4, v4, v9, s0
	v_cmp_gt_f32_e64 s0, 0, v3
	v_bfi_b32 v6, 0x7fffffff, v6, v8
	v_cndmask_b32_e32 v7, v4, v7, vcc_lo
	v_cndmask_b32_e64 v5, v5, v10, s0
	s_or_b32 vcc_lo, s7, s1
	v_add_nc_u32_e32 v4, 0, v1
	v_mov_b32_e32 v1, 0
	s_cmp_lt_u32 s8, 2
	v_cndmask_b32_e32 v5, v5, v6, vcc_lo
	v_cmp_o_f32_e32 vcc_lo, v2, v2
	v_cndmask_b32_e32 v2, 0x7fc00000, v7, vcc_lo
	v_cmp_o_f32_e32 vcc_lo, v3, v3
	v_cndmask_b32_e32 v3, 0x7fc00000, v5, vcc_lo
	ds_write_b64 v4, v[2:3]
	s_waitcnt lgkmcnt(0)
	s_barrier
	buffer_gl0_inv
	s_cbranch_scc1 .LBB1_6
; %bb.1:
	s_mov_b64 s[0:1], s[8:9]
	s_inst_prefetch 0x1
	s_branch .LBB1_3
	.p2align	6
.LBB1_2:                                ;   in Loop: Header=BB1_3 Depth=1
	s_or_b32 exec_lo, exec_lo, s7
	v_cmp_lt_u64_e64 s2, s[2:3], 4
	s_waitcnt lgkmcnt(0)
	s_barrier
	buffer_gl0_inv
	s_and_b32 vcc_lo, exec_lo, s2
	s_cbranch_vccnz .LBB1_6
.LBB1_3:                                ; =>This Inner Loop Header: Depth=1
	s_mov_b64 s[2:3], s[0:1]
	s_lshr_b64 s[0:1], s[0:1], 1
	s_mov_b32 s7, exec_lo
	v_cmpx_gt_u64_e64 s[0:1], v[0:1]
	s_cbranch_execz .LBB1_2
; %bb.4:                                ;   in Loop: Header=BB1_3 Depth=1
	s_lshl_b32 s8, s2, 2
	s_and_b32 s8, s8, -8
	s_add_u32 s10, s0, -1
	v_add_nc_u32_e32 v2, s8, v4
	s_addc_u32 s11, s1, -1
	s_bitcmp1_b32 s2, 0
	v_cmp_eq_u64_e32 vcc_lo, s[10:11], v[0:1]
	s_cselect_b32 s8, -1, 0
	ds_read_b64 v[2:3], v2
	ds_read_b64 v[5:6], v4
	s_and_b32 s8, s8, vcc_lo
	s_waitcnt lgkmcnt(0)
	v_add_f32_e32 v3, v3, v6
	v_add_f32_e32 v2, v2, v5
	ds_write_b64 v4, v[2:3]
	s_and_b32 exec_lo, exec_lo, s8
	s_cbranch_execz .LBB1_2
; %bb.5:                                ;   in Loop: Header=BB1_3 Depth=1
	s_lshl_b32 s8, s2, 3
	s_add_i32 s8, s8, 0
	s_add_i32 s8, s8, -8
	v_mov_b32_e32 v5, s8
	ds_read_b64 v[5:6], v5
	s_waitcnt lgkmcnt(0)
	v_add_f32_e32 v3, v3, v6
	v_add_f32_e32 v2, v2, v5
	ds_write_b64 v4, v[2:3]
	s_branch .LBB1_2
.LBB1_6:
	s_inst_prefetch 0x2
	s_mov_b32 s0, exec_lo
	v_cmpx_eq_u32_e32 0, v0
	s_cbranch_execz .LBB1_8
; %bb.7:
	v_mov_b32_e32 v2, 0
	s_load_dwordx2 s[0:1], s[4:5], 0x18
	s_mov_b32 s7, s9
	s_lshl_b64 s[2:3], s[6:7], 3
	ds_read_b64 v[0:1], v2
	s_waitcnt lgkmcnt(0)
	s_add_u32 s0, s0, s2
	s_addc_u32 s1, s1, s3
	global_store_dwordx2 v2, v[0:1], s[0:1]
.LBB1_8:
	s_endpgm
	.section	.rodata,"a",@progbits
	.p2align	6, 0x0
	.amdhsa_kernel _Z8rsquaredPK15HIP_vector_typeIfLj2EEfS0_PS0_
		.amdhsa_group_segment_fixed_size 0
		.amdhsa_private_segment_fixed_size 0
		.amdhsa_kernarg_size 288
		.amdhsa_user_sgpr_count 6
		.amdhsa_user_sgpr_private_segment_buffer 1
		.amdhsa_user_sgpr_dispatch_ptr 0
		.amdhsa_user_sgpr_queue_ptr 0
		.amdhsa_user_sgpr_kernarg_segment_ptr 1
		.amdhsa_user_sgpr_dispatch_id 0
		.amdhsa_user_sgpr_flat_scratch_init 0
		.amdhsa_user_sgpr_private_segment_size 0
		.amdhsa_wavefront_size32 1
		.amdhsa_uses_dynamic_stack 0
		.amdhsa_system_sgpr_private_segment_wavefront_offset 0
		.amdhsa_system_sgpr_workgroup_id_x 1
		.amdhsa_system_sgpr_workgroup_id_y 0
		.amdhsa_system_sgpr_workgroup_id_z 0
		.amdhsa_system_sgpr_workgroup_info 0
		.amdhsa_system_vgpr_workitem_id 0
		.amdhsa_next_free_vgpr 28
		.amdhsa_next_free_sgpr 12
		.amdhsa_reserve_vcc 1
		.amdhsa_reserve_flat_scratch 0
		.amdhsa_float_round_mode_32 0
		.amdhsa_float_round_mode_16_64 0
		.amdhsa_float_denorm_mode_32 3
		.amdhsa_float_denorm_mode_16_64 3
		.amdhsa_dx10_clamp 1
		.amdhsa_ieee_mode 1
		.amdhsa_fp16_overflow 0
		.amdhsa_workgroup_processor_mode 1
		.amdhsa_memory_ordered 1
		.amdhsa_forward_progress 1
		.amdhsa_shared_vgpr_count 0
		.amdhsa_exception_fp_ieee_invalid_op 0
		.amdhsa_exception_fp_denorm_src 0
		.amdhsa_exception_fp_ieee_div_zero 0
		.amdhsa_exception_fp_ieee_overflow 0
		.amdhsa_exception_fp_ieee_underflow 0
		.amdhsa_exception_fp_ieee_inexact 0
		.amdhsa_exception_int_div_zero 0
	.end_amdhsa_kernel
	.text
.Lfunc_end1:
	.size	_Z8rsquaredPK15HIP_vector_typeIfLj2EEfS0_PS0_, .Lfunc_end1-_Z8rsquaredPK15HIP_vector_typeIfLj2EEfS0_PS0_
                                        ; -- End function
	.set _Z8rsquaredPK15HIP_vector_typeIfLj2EEfS0_PS0_.num_vgpr, 28
	.set _Z8rsquaredPK15HIP_vector_typeIfLj2EEfS0_PS0_.num_agpr, 0
	.set _Z8rsquaredPK15HIP_vector_typeIfLj2EEfS0_PS0_.numbered_sgpr, 12
	.set _Z8rsquaredPK15HIP_vector_typeIfLj2EEfS0_PS0_.num_named_barrier, 0
	.set _Z8rsquaredPK15HIP_vector_typeIfLj2EEfS0_PS0_.private_seg_size, 0
	.set _Z8rsquaredPK15HIP_vector_typeIfLj2EEfS0_PS0_.uses_vcc, 1
	.set _Z8rsquaredPK15HIP_vector_typeIfLj2EEfS0_PS0_.uses_flat_scratch, 0
	.set _Z8rsquaredPK15HIP_vector_typeIfLj2EEfS0_PS0_.has_dyn_sized_stack, 0
	.set _Z8rsquaredPK15HIP_vector_typeIfLj2EEfS0_PS0_.has_recursion, 0
	.set _Z8rsquaredPK15HIP_vector_typeIfLj2EEfS0_PS0_.has_indirect_call, 0
	.section	.AMDGPU.csdata,"",@progbits
; Kernel info:
; codeLenInByte = 2176
; TotalNumSgprs: 14
; NumVgprs: 28
; ScratchSize: 0
; MemoryBound: 0
; FloatMode: 240
; IeeeMode: 1
; LDSByteSize: 0 bytes/workgroup (compile time only)
; SGPRBlocks: 0
; VGPRBlocks: 3
; NumSGPRsForWavesPerEU: 14
; NumVGPRsForWavesPerEU: 28
; Occupancy: 16
; WaveLimiterHint : 0
; COMPUTE_PGM_RSRC2:SCRATCH_EN: 0
; COMPUTE_PGM_RSRC2:USER_SGPR: 6
; COMPUTE_PGM_RSRC2:TRAP_HANDLER: 0
; COMPUTE_PGM_RSRC2:TGID_X_EN: 1
; COMPUTE_PGM_RSRC2:TGID_Y_EN: 0
; COMPUTE_PGM_RSRC2:TGID_Z_EN: 0
; COMPUTE_PGM_RSRC2:TIDIG_COMP_CNT: 0
	.text
	.p2alignl 6, 3214868480
	.fill 48, 4, 3214868480
	.section	.AMDGPU.gpr_maximums,"",@progbits
	.set amdgpu.max_num_vgpr, 0
	.set amdgpu.max_num_agpr, 0
	.set amdgpu.max_num_sgpr, 0
	.text
	.type	__hip_cuid_e312af2322bd2781,@object ; @__hip_cuid_e312af2322bd2781
	.section	.bss,"aw",@nobits
	.globl	__hip_cuid_e312af2322bd2781
__hip_cuid_e312af2322bd2781:
	.byte	0                               ; 0x0
	.size	__hip_cuid_e312af2322bd2781, 1

	.ident	"AMD clang version 22.0.0git (https://github.com/RadeonOpenCompute/llvm-project roc-7.2.4 26084 f58b06dce1f9c15707c5f808fd002e18c2accf7e)"
	.section	".note.GNU-stack","",@progbits
	.addrsig
	.addrsig_sym __hip_cuid_e312af2322bd2781
	.amdgpu_metadata
---
amdhsa.kernels:
  - .args:
      - .actual_access:  read_only
        .address_space:  global
        .offset:         0
        .size:           8
        .value_kind:     global_buffer
      - .actual_access:  write_only
        .address_space:  global
        .offset:         8
        .size:           8
        .value_kind:     global_buffer
      - .offset:         16
        .size:           4
        .value_kind:     hidden_block_count_x
      - .offset:         20
        .size:           4
        .value_kind:     hidden_block_count_y
      - .offset:         24
        .size:           4
        .value_kind:     hidden_block_count_z
      - .offset:         28
        .size:           2
        .value_kind:     hidden_group_size_x
      - .offset:         30
        .size:           2
        .value_kind:     hidden_group_size_y
      - .offset:         32
        .size:           2
        .value_kind:     hidden_group_size_z
      - .offset:         34
        .size:           2
        .value_kind:     hidden_remainder_x
      - .offset:         36
        .size:           2
        .value_kind:     hidden_remainder_y
      - .offset:         38
        .size:           2
        .value_kind:     hidden_remainder_z
      - .offset:         56
        .size:           8
        .value_kind:     hidden_global_offset_x
      - .offset:         64
        .size:           8
        .value_kind:     hidden_global_offset_y
      - .offset:         72
        .size:           8
        .value_kind:     hidden_global_offset_z
      - .offset:         80
        .size:           2
        .value_kind:     hidden_grid_dims
      - .offset:         136
        .size:           4
        .value_kind:     hidden_dynamic_lds_size
    .group_segment_fixed_size: 0
    .kernarg_segment_align: 8
    .kernarg_segment_size: 272
    .language:       OpenCL C
    .language_version:
      - 2
      - 0
    .max_flat_workgroup_size: 1024
    .name:           _Z17linear_regressionPK15HIP_vector_typeIfLj2EEPS_IfLj4EE
    .private_segment_fixed_size: 0
    .sgpr_count:     14
    .sgpr_spill_count: 0
    .symbol:         _Z17linear_regressionPK15HIP_vector_typeIfLj2EEPS_IfLj4EE.kd
    .uniform_work_group_size: 1
    .uses_dynamic_stack: false
    .vgpr_count:     11
    .vgpr_spill_count: 0
    .wavefront_size: 32
    .workgroup_processor_mode: 1
  - .args:
      - .actual_access:  read_only
        .address_space:  global
        .offset:         0
        .size:           8
        .value_kind:     global_buffer
      - .offset:         8
        .size:           4
        .value_kind:     by_value
      - .offset:         16
        .size:           8
        .value_kind:     by_value
      - .actual_access:  write_only
        .address_space:  global
        .offset:         24
        .size:           8
        .value_kind:     global_buffer
      - .offset:         32
        .size:           4
        .value_kind:     hidden_block_count_x
      - .offset:         36
        .size:           4
        .value_kind:     hidden_block_count_y
      - .offset:         40
        .size:           4
        .value_kind:     hidden_block_count_z
      - .offset:         44
        .size:           2
        .value_kind:     hidden_group_size_x
      - .offset:         46
        .size:           2
        .value_kind:     hidden_group_size_y
      - .offset:         48
        .size:           2
        .value_kind:     hidden_group_size_z
      - .offset:         50
        .size:           2
        .value_kind:     hidden_remainder_x
      - .offset:         52
        .size:           2
        .value_kind:     hidden_remainder_y
      - .offset:         54
        .size:           2
        .value_kind:     hidden_remainder_z
      - .offset:         72
        .size:           8
        .value_kind:     hidden_global_offset_x
      - .offset:         80
        .size:           8
        .value_kind:     hidden_global_offset_y
      - .offset:         88
        .size:           8
        .value_kind:     hidden_global_offset_z
      - .offset:         96
        .size:           2
        .value_kind:     hidden_grid_dims
      - .offset:         152
        .size:           4
        .value_kind:     hidden_dynamic_lds_size
    .group_segment_fixed_size: 0
    .kernarg_segment_align: 8
    .kernarg_segment_size: 288
    .language:       OpenCL C
    .language_version:
      - 2
      - 0
    .max_flat_workgroup_size: 1024
    .name:           _Z8rsquaredPK15HIP_vector_typeIfLj2EEfS0_PS0_
    .private_segment_fixed_size: 0
    .sgpr_count:     14
    .sgpr_spill_count: 0
    .symbol:         _Z8rsquaredPK15HIP_vector_typeIfLj2EEfS0_PS0_.kd
    .uniform_work_group_size: 1
    .uses_dynamic_stack: false
    .vgpr_count:     28
    .vgpr_spill_count: 0
    .wavefront_size: 32
    .workgroup_processor_mode: 1
amdhsa.target:   amdgcn-amd-amdhsa--gfx1030
amdhsa.version:
  - 1
  - 2
...

	.end_amdgpu_metadata
